;; amdgpu-corpus repo=ROCm/rocFFT kind=compiled arch=gfx906 opt=O3
	.text
	.amdgcn_target "amdgcn-amd-amdhsa--gfx906"
	.amdhsa_code_object_version 6
	.protected	bluestein_single_back_len378_dim1_dp_op_CI_CI ; -- Begin function bluestein_single_back_len378_dim1_dp_op_CI_CI
	.globl	bluestein_single_back_len378_dim1_dp_op_CI_CI
	.p2align	8
	.type	bluestein_single_back_len378_dim1_dp_op_CI_CI,@function
bluestein_single_back_len378_dim1_dp_op_CI_CI: ; @bluestein_single_back_len378_dim1_dp_op_CI_CI
; %bb.0:
	s_load_dwordx4 s[0:3], s[4:5], 0x28
	v_mul_u32_u24_e32 v1, 0x209, v0
	v_add_u32_sdwa v68, s6, v1 dst_sel:DWORD dst_unused:UNUSED_PAD src0_sel:DWORD src1_sel:WORD_1
	v_mov_b32_e32 v69, 0
	s_waitcnt lgkmcnt(0)
	v_cmp_gt_u64_e32 vcc, s[0:1], v[68:69]
	s_and_saveexec_b64 s[0:1], vcc
	s_cbranch_execz .LBB0_23
; %bb.1:
	s_load_dwordx2 s[14:15], s[4:5], 0x0
	s_load_dwordx2 s[12:13], s[4:5], 0x38
	s_movk_i32 s0, 0x7e
	v_mul_lo_u16_sdwa v1, v1, s0 dst_sel:DWORD dst_unused:UNUSED_PAD src0_sel:WORD_1 src1_sel:DWORD
	v_sub_u16_e32 v81, v0, v1
	v_cmp_gt_u16_e64 s[0:1], 63, v81
	v_lshlrev_b32_e32 v82, 4, v81
	s_and_saveexec_b64 s[6:7], s[0:1]
	s_cbranch_execz .LBB0_3
; %bb.2:
	s_load_dwordx2 s[8:9], s[4:5], 0x18
	s_waitcnt lgkmcnt(0)
	v_mov_b32_e32 v20, s15
	s_load_dwordx4 s[8:11], s[8:9], 0x0
	s_waitcnt lgkmcnt(0)
	v_mad_u64_u32 v[0:1], s[16:17], s10, v68, 0
	v_mad_u64_u32 v[2:3], s[16:17], s8, v81, 0
	;; [unrolled: 1-line block ×4, first 2 shown]
	v_mov_b32_e32 v1, v4
	v_lshlrev_b64 v[0:1], 4, v[0:1]
	v_mov_b32_e32 v3, v5
	v_mov_b32_e32 v6, s3
	v_lshlrev_b64 v[2:3], 4, v[2:3]
	v_add_co_u32_e32 v0, vcc, s2, v0
	v_addc_co_u32_e32 v1, vcc, v6, v1, vcc
	v_add_co_u32_e32 v16, vcc, v0, v2
	s_mul_i32 s3, s9, 0x3f0
	s_mul_hi_u32 s9, s8, 0x3f0
	v_addc_co_u32_e32 v17, vcc, v1, v3, vcc
	s_mulk_i32 s8, 0x3f0
	s_add_i32 s3, s9, s3
	v_mov_b32_e32 v8, s3
	v_add_co_u32_e32 v18, vcc, s8, v16
	v_addc_co_u32_e32 v19, vcc, v17, v8, vcc
	global_load_dwordx4 v[0:3], v82, s[14:15] offset:1008
	global_load_dwordx4 v[4:7], v82, s[14:15] offset:2016
	global_load_dwordx4 v[8:11], v[16:17], off
	global_load_dwordx4 v[12:15], v[18:19], off
	v_add_co_u32_e32 v16, vcc, s14, v82
	v_addc_co_u32_e32 v17, vcc, 0, v20, vcc
	v_mov_b32_e32 v20, s3
	v_add_co_u32_e32 v40, vcc, s8, v18
	s_movk_i32 s2, 0x1000
	v_addc_co_u32_e32 v41, vcc, v19, v20, vcc
	v_add_co_u32_e32 v24, vcc, s2, v16
	v_addc_co_u32_e32 v25, vcc, 0, v17, vcc
	global_load_dwordx4 v[16:19], v82, s[14:15]
	global_load_dwordx4 v[20:23], v[24:25], off offset:944
	v_mov_b32_e32 v24, s3
	v_add_co_u32_e32 v42, vcc, s8, v40
	v_addc_co_u32_e32 v43, vcc, v41, v24, vcc
	global_load_dwordx4 v[24:27], v[40:41], off
	global_load_dwordx4 v[28:31], v[42:43], off
	global_load_dwordx4 v[32:35], v82, s[14:15] offset:3024
	global_load_dwordx4 v[36:39], v82, s[14:15] offset:4032
	v_mov_b32_e32 v40, s3
	v_add_co_u32_e32 v44, vcc, s8, v42
	v_addc_co_u32_e32 v45, vcc, v43, v40, vcc
	v_mov_b32_e32 v46, s3
	global_load_dwordx4 v[40:43], v[44:45], off
	v_add_co_u32_e32 v44, vcc, s8, v44
	v_addc_co_u32_e32 v45, vcc, v45, v46, vcc
	global_load_dwordx4 v[44:47], v[44:45], off
	s_waitcnt vmcnt(8)
	v_mul_f64 v[50:51], v[14:15], v[2:3]
	v_mul_f64 v[2:3], v[12:13], v[2:3]
	s_waitcnt vmcnt(7)
	v_mul_f64 v[48:49], v[10:11], v[18:19]
	v_mul_f64 v[18:19], v[8:9], v[18:19]
	;; [unrolled: 3-line block ×4, first 2 shown]
	v_fma_f64 v[6:7], v[8:9], v[16:17], v[48:49]
	v_fma_f64 v[8:9], v[10:11], v[16:17], -v[18:19]
	v_fma_f64 v[10:11], v[12:13], v[0:1], v[50:51]
	v_fma_f64 v[12:13], v[14:15], v[0:1], -v[2:3]
	;; [unrolled: 2-line block ×3, first 2 shown]
	s_waitcnt vmcnt(1)
	v_mul_f64 v[58:59], v[42:43], v[38:39]
	v_mul_f64 v[38:39], v[40:41], v[38:39]
	v_fma_f64 v[14:15], v[28:29], v[32:33], v[56:57]
	v_fma_f64 v[16:17], v[30:31], v[32:33], -v[34:35]
	s_waitcnt vmcnt(0)
	v_mul_f64 v[60:61], v[46:47], v[22:23]
	v_mul_f64 v[62:63], v[44:45], v[22:23]
	v_fma_f64 v[22:23], v[40:41], v[36:37], v[58:59]
	v_fma_f64 v[24:25], v[42:43], v[36:37], -v[38:39]
	v_fma_f64 v[18:19], v[44:45], v[20:21], v[60:61]
	v_fma_f64 v[20:21], v[46:47], v[20:21], -v[62:63]
	ds_write_b128 v82, v[6:9]
	ds_write_b128 v82, v[10:13] offset:1008
	ds_write_b128 v82, v[0:3] offset:2016
	;; [unrolled: 1-line block ×5, first 2 shown]
.LBB0_3:
	s_or_b64 exec, exec, s[6:7]
	s_load_dwordx2 s[6:7], s[4:5], 0x20
	s_load_dwordx2 s[8:9], s[4:5], 0x8
	s_waitcnt lgkmcnt(0)
	s_barrier
	s_waitcnt lgkmcnt(0)
                                        ; implicit-def: $vgpr0_vgpr1
                                        ; implicit-def: $vgpr4_vgpr5
                                        ; implicit-def: $vgpr8_vgpr9
                                        ; implicit-def: $vgpr12_vgpr13
                                        ; implicit-def: $vgpr20_vgpr21
                                        ; implicit-def: $vgpr16_vgpr17
	s_and_saveexec_b64 s[2:3], s[0:1]
	s_cbranch_execz .LBB0_5
; %bb.4:
	ds_read_b128 v[0:3], v82
	ds_read_b128 v[4:7], v82 offset:1008
	ds_read_b128 v[8:11], v82 offset:2016
	;; [unrolled: 1-line block ×5, first 2 shown]
.LBB0_5:
	s_or_b64 exec, exec, s[2:3]
	s_waitcnt lgkmcnt(1)
	v_add_f64 v[24:25], v[8:9], v[20:21]
	s_waitcnt lgkmcnt(0)
	v_add_f64 v[30:31], v[14:15], v[18:19]
	v_add_f64 v[32:33], v[12:13], v[16:17]
	v_add_f64 v[26:27], v[0:1], v[8:9]
	v_add_f64 v[28:29], v[10:11], -v[22:23]
	v_add_f64 v[34:35], v[10:11], v[22:23]
	v_add_f64 v[36:37], v[14:15], -v[18:19]
	v_add_f64 v[38:39], v[12:13], -v[16:17]
	v_fma_f64 v[24:25], v[24:25], -0.5, v[0:1]
	v_fma_f64 v[30:31], v[30:31], -0.5, v[6:7]
	;; [unrolled: 1-line block ×3, first 2 shown]
	s_mov_b32 s2, 0xe8584caa
	s_mov_b32 s3, 0x3febb67a
	;; [unrolled: 1-line block ×4, first 2 shown]
	v_add_f64 v[10:11], v[2:3], v[10:11]
	v_fma_f64 v[0:1], v[28:29], s[2:3], v[24:25]
	v_fma_f64 v[24:25], v[28:29], s[10:11], v[24:25]
	v_fma_f64 v[28:29], v[34:35], -0.5, v[2:3]
	v_fma_f64 v[34:35], v[38:39], s[10:11], v[30:31]
	v_fma_f64 v[40:41], v[36:37], s[10:11], v[32:33]
	v_add_f64 v[2:3], v[26:27], v[20:21]
	v_fma_f64 v[26:27], v[36:37], s[2:3], v[32:33]
	v_fma_f64 v[30:31], v[38:39], s[2:3], v[30:31]
	v_add_f64 v[20:21], v[8:9], -v[20:21]
	v_add_f64 v[8:9], v[10:11], v[22:23]
	v_add_f64 v[4:5], v[4:5], v[12:13]
	v_mul_f64 v[10:11], v[34:35], s[2:3]
	v_mul_f64 v[22:23], v[40:41], -0.5
	v_add_f64 v[14:15], v[6:7], v[14:15]
	v_mul_f64 v[32:33], v[26:27], s[10:11]
	v_mul_f64 v[36:37], v[30:31], -0.5
	v_fma_f64 v[12:13], v[20:21], s[10:11], v[28:29]
	v_fma_f64 v[20:21], v[20:21], s[2:3], v[28:29]
	v_add_f64 v[4:5], v[4:5], v[16:17]
	v_fma_f64 v[6:7], v[26:27], 0.5, v[10:11]
	v_fma_f64 v[10:11], v[30:31], s[2:3], v[22:23]
	v_add_f64 v[14:15], v[14:15], v[18:19]
	v_fma_f64 v[16:17], v[34:35], 0.5, v[32:33]
	v_fma_f64 v[18:19], v[40:41], s[10:11], v[36:37]
	v_mul_lo_u16_e32 v83, 6, v81
	v_add_f64 v[40:41], v[2:3], -v[4:5]
	v_add_f64 v[44:45], v[0:1], -v[6:7]
	;; [unrolled: 1-line block ×6, first 2 shown]
	s_barrier
	s_and_saveexec_b64 s[4:5], s[0:1]
	s_cbranch_execz .LBB0_7
; %bb.6:
	v_add_f64 v[22:23], v[12:13], v[16:17]
	v_add_f64 v[14:15], v[8:9], v[14:15]
	;; [unrolled: 1-line block ×6, first 2 shown]
	v_lshlrev_b32_e32 v0, 4, v83
	ds_write_b128 v0, v[12:15]
	ds_write_b128 v0, v[20:23] offset:16
	ds_write_b128 v0, v[16:19] offset:32
	;; [unrolled: 1-line block ×5, first 2 shown]
.LBB0_7:
	s_or_b64 exec, exec, s[4:5]
	s_movk_i32 s16, 0xab
	v_mul_lo_u16_sdwa v0, v81, s16 dst_sel:DWORD dst_unused:UNUSED_PAD src0_sel:BYTE_0 src1_sel:DWORD
	v_lshrrev_b16_e32 v24, 10, v0
	v_mul_lo_u16_e32 v0, 6, v24
	v_sub_u16_e32 v0, v81, v0
	v_and_b32_e32 v30, 0xff, v0
	v_lshlrev_b32_e32 v8, 5, v30
	s_load_dwordx4 s[4:7], s[6:7], 0x0
	s_waitcnt lgkmcnt(0)
	s_barrier
	global_load_dwordx4 v[4:7], v8, s[8:9]
	global_load_dwordx4 v[0:3], v8, s[8:9] offset:16
	ds_read_b128 v[8:11], v82 offset:2016
	ds_read_b128 v[12:15], v82 offset:4032
	v_mul_u32_u24_e32 v31, 18, v24
	v_add_lshl_u32 v85, v31, v30, 4
                                        ; implicit-def: $vgpr64_vgpr65
	s_waitcnt vmcnt(1) lgkmcnt(1)
	v_mul_f64 v[16:17], v[10:11], v[6:7]
	s_waitcnt vmcnt(0) lgkmcnt(0)
	v_mul_f64 v[18:19], v[14:15], v[2:3]
	v_mul_f64 v[20:21], v[8:9], v[6:7]
	;; [unrolled: 1-line block ×3, first 2 shown]
	v_fma_f64 v[16:17], v[8:9], v[4:5], -v[16:17]
	v_fma_f64 v[12:13], v[12:13], v[0:1], -v[18:19]
	v_fma_f64 v[18:19], v[10:11], v[4:5], v[20:21]
	v_fma_f64 v[14:15], v[14:15], v[0:1], v[22:23]
	v_mov_b32_e32 v22, 57
	v_mul_lo_u16_sdwa v25, v81, v22 dst_sel:DWORD dst_unused:UNUSED_PAD src0_sel:BYTE_0 src1_sel:DWORD
	ds_read_b128 v[8:11], v82
	v_lshrrev_b16_e32 v36, 10, v25
	s_waitcnt lgkmcnt(0)
	v_add_f64 v[20:21], v[16:17], v[12:13]
	v_add_f64 v[28:29], v[16:17], -v[12:13]
	v_add_f64 v[22:23], v[18:19], v[14:15]
	v_add_f64 v[24:25], v[8:9], v[16:17]
	v_add_f64 v[26:27], v[18:19], -v[14:15]
	v_add_f64 v[18:19], v[10:11], v[18:19]
	s_barrier
	v_fma_f64 v[20:21], v[20:21], -0.5, v[8:9]
	v_mul_lo_u16_e32 v8, 18, v36
	v_fma_f64 v[22:23], v[22:23], -0.5, v[10:11]
	v_sub_u16_e32 v8, v81, v8
	v_and_b32_e32 v37, 0xff, v8
	v_add_f64 v[8:9], v[24:25], v[12:13]
	v_add_f64 v[10:11], v[18:19], v[14:15]
	v_fma_f64 v[12:13], v[26:27], s[2:3], v[20:21]
	v_fma_f64 v[16:17], v[26:27], s[10:11], v[20:21]
	v_fma_f64 v[14:15], v[28:29], s[10:11], v[22:23]
	v_fma_f64 v[18:19], v[28:29], s[2:3], v[22:23]
	v_lshlrev_b32_e32 v28, 5, v37
	ds_write_b128 v85, v[8:11]
	ds_write_b128 v85, v[12:15] offset:96
	ds_write_b128 v85, v[16:19] offset:192
	s_waitcnt lgkmcnt(0)
	s_barrier
	global_load_dwordx4 v[24:27], v28, s[8:9] offset:192
	global_load_dwordx4 v[20:23], v28, s[8:9] offset:208
	ds_read_b128 v[8:11], v82 offset:2016
	ds_read_b128 v[12:15], v82 offset:4032
	s_waitcnt vmcnt(1) lgkmcnt(1)
	v_mul_f64 v[16:17], v[10:11], v[26:27]
	s_waitcnt vmcnt(0) lgkmcnt(0)
	v_mul_f64 v[18:19], v[14:15], v[22:23]
	v_mul_f64 v[28:29], v[8:9], v[26:27]
	v_mul_f64 v[30:31], v[12:13], v[22:23]
	v_fma_f64 v[16:17], v[8:9], v[24:25], -v[16:17]
	v_fma_f64 v[12:13], v[12:13], v[20:21], -v[18:19]
	v_fma_f64 v[18:19], v[10:11], v[24:25], v[28:29]
	v_fma_f64 v[14:15], v[14:15], v[20:21], v[30:31]
	ds_read_b128 v[8:11], v82
	s_waitcnt lgkmcnt(0)
	s_barrier
	v_add_f64 v[28:29], v[16:17], v[12:13]
	v_add_f64 v[32:33], v[8:9], v[16:17]
	;; [unrolled: 1-line block ×3, first 2 shown]
	v_add_f64 v[34:35], v[18:19], -v[14:15]
	v_add_f64 v[18:19], v[10:11], v[18:19]
	v_add_f64 v[16:17], v[16:17], -v[12:13]
	v_fma_f64 v[8:9], v[28:29], -0.5, v[8:9]
	v_add_f64 v[52:53], v[32:33], v[12:13]
	v_fma_f64 v[10:11], v[30:31], -0.5, v[10:11]
	v_add_f64 v[54:55], v[18:19], v[14:15]
	v_fma_f64 v[56:57], v[34:35], s[2:3], v[8:9]
	v_fma_f64 v[60:61], v[34:35], s[10:11], v[8:9]
	;; [unrolled: 1-line block ×4, first 2 shown]
	v_mul_u32_u24_e32 v8, 54, v36
	v_add_lshl_u32 v84, v8, v37, 4
	v_cmp_gt_u16_e64 s[2:3], 54, v81
	ds_write_b128 v84, v[52:55]
	ds_write_b128 v84, v[56:59] offset:288
	ds_write_b128 v84, v[60:63] offset:576
	s_waitcnt lgkmcnt(0)
	s_barrier
	s_and_saveexec_b64 s[10:11], s[2:3]
	s_cbranch_execz .LBB0_9
; %bb.8:
	ds_read_b128 v[52:55], v82
	ds_read_b128 v[56:59], v82 offset:864
	ds_read_b128 v[60:63], v82 offset:1728
	;; [unrolled: 1-line block ×6, first 2 shown]
.LBB0_9:
	s_or_b64 exec, exec, s[10:11]
	v_mov_b32_e32 v8, 19
	v_mul_lo_u16_sdwa v8, v81, v8 dst_sel:DWORD dst_unused:UNUSED_PAD src0_sel:BYTE_0 src1_sel:DWORD
	v_lshrrev_b16_e32 v8, 10, v8
	v_mul_lo_u16_e32 v8, 54, v8
	v_sub_u16_e32 v8, v81, v8
	v_and_b32_e32 v10, 0xff, v8
	v_mov_b32_e32 v8, s8
	s_movk_i32 s10, 0x60
	v_mov_b32_e32 v9, s9
	v_mad_u64_u32 v[69:70], s[8:9], v10, s10, v[8:9]
	global_load_dwordx4 v[16:19], v[69:70], off offset:768
	global_load_dwordx4 v[28:31], v[69:70], off offset:784
	global_load_dwordx4 v[12:15], v[69:70], off offset:800
	global_load_dwordx4 v[8:11], v[69:70], off offset:816
	global_load_dwordx4 v[36:39], v[69:70], off offset:832
	global_load_dwordx4 v[32:35], v[69:70], off offset:848
	s_mov_b32 s10, 0x37e14327
	s_mov_b32 s8, 0x36b3c0b5
	;; [unrolled: 1-line block ×16, first 2 shown]
	s_waitcnt vmcnt(5) lgkmcnt(5)
	v_mul_f64 v[69:70], v[58:59], v[18:19]
	v_mul_f64 v[71:72], v[56:57], v[18:19]
	s_waitcnt vmcnt(4) lgkmcnt(4)
	v_mul_f64 v[73:74], v[62:63], v[30:31]
	v_mul_f64 v[75:76], v[60:61], v[30:31]
	s_waitcnt vmcnt(1) lgkmcnt(1)
	v_mul_f64 v[90:91], v[50:51], v[38:39]
	s_waitcnt vmcnt(0) lgkmcnt(0)
	v_mul_f64 v[92:93], v[66:67], v[34:35]
	v_mul_f64 v[94:95], v[48:49], v[38:39]
	;; [unrolled: 1-line block ×7, first 2 shown]
	v_fma_f64 v[56:57], v[56:57], v[16:17], -v[69:70]
	v_fma_f64 v[58:59], v[58:59], v[16:17], v[71:72]
	v_fma_f64 v[60:61], v[60:61], v[28:29], -v[73:74]
	v_fma_f64 v[62:63], v[62:63], v[28:29], v[75:76]
	v_fma_f64 v[64:65], v[64:65], v[32:33], -v[92:93]
	v_fma_f64 v[48:49], v[48:49], v[36:37], -v[90:91]
	v_fma_f64 v[66:67], v[66:67], v[32:33], v[96:97]
	v_fma_f64 v[50:51], v[50:51], v[36:37], v[94:95]
	v_fma_f64 v[40:41], v[40:41], v[12:13], -v[77:78]
	v_fma_f64 v[42:43], v[42:43], v[12:13], v[79:80]
	v_fma_f64 v[44:45], v[44:45], v[8:9], -v[86:87]
	v_fma_f64 v[46:47], v[46:47], v[8:9], v[88:89]
	v_add_f64 v[69:70], v[56:57], v[64:65]
	v_add_f64 v[71:72], v[60:61], v[48:49]
	;; [unrolled: 1-line block ×4, first 2 shown]
	v_add_f64 v[48:49], v[60:61], -v[48:49]
	v_add_f64 v[50:51], v[62:63], -v[50:51]
	v_add_f64 v[73:74], v[40:41], v[44:45]
	v_add_f64 v[79:80], v[42:43], v[46:47]
	v_add_f64 v[40:41], v[44:45], -v[40:41]
	v_add_f64 v[42:43], v[46:47], -v[42:43]
	;; [unrolled: 1-line block ×4, first 2 shown]
	v_add_f64 v[44:45], v[71:72], v[69:70]
	v_add_f64 v[46:47], v[77:78], v[75:76]
	v_add_f64 v[60:61], v[71:72], -v[69:70]
	v_add_f64 v[62:63], v[69:70], -v[73:74]
	;; [unrolled: 1-line block ×6, first 2 shown]
	v_add_f64 v[75:76], v[40:41], v[48:49]
	v_add_f64 v[77:78], v[40:41], -v[48:49]
	v_add_f64 v[86:87], v[42:43], v[50:51]
	v_add_f64 v[88:89], v[42:43], -v[50:51]
	v_add_f64 v[48:49], v[48:49], -v[56:57]
	v_add_f64 v[50:51], v[50:51], -v[58:59]
	v_add_f64 v[73:74], v[73:74], v[44:45]
	v_add_f64 v[79:80], v[79:80], v[46:47]
	v_add_f64 v[40:41], v[56:57], -v[40:41]
	v_add_f64 v[42:43], v[58:59], -v[42:43]
	v_add_f64 v[56:57], v[75:76], v[56:57]
	v_add_f64 v[58:59], v[86:87], v[58:59]
	v_mul_f64 v[62:63], v[62:63], s[10:11]
	v_mul_f64 v[75:76], v[64:65], s[8:9]
	;; [unrolled: 1-line block ×8, first 2 shown]
	v_add_f64 v[44:45], v[52:53], v[73:74]
	v_add_f64 v[46:47], v[54:55], v[79:80]
	v_fma_f64 v[52:53], v[64:65], s[8:9], v[62:63]
	v_fma_f64 v[54:55], v[60:61], s[16:17], -v[75:76]
	v_fma_f64 v[64:65], v[66:67], s[16:17], -v[86:87]
	s_mov_b32 s17, 0xbfe77f67
	v_fma_f64 v[48:49], v[48:49], s[20:21], -v[77:78]
	v_fma_f64 v[75:76], v[40:41], s[18:19], v[77:78]
	v_fma_f64 v[77:78], v[42:43], s[18:19], v[88:89]
	s_mov_b32 s19, 0xbfd5d0dc
	v_fma_f64 v[71:72], v[71:72], s[8:9], v[69:70]
	v_fma_f64 v[50:51], v[50:51], s[20:21], -v[88:89]
	v_fma_f64 v[60:61], v[60:61], s[16:17], -v[62:63]
	v_fma_f64 v[62:63], v[66:67], s[16:17], -v[69:70]
	v_fma_f64 v[66:67], v[73:74], s[26:27], v[44:45]
	v_fma_f64 v[69:70], v[79:80], s[26:27], v[46:47]
	v_fma_f64 v[40:41], v[40:41], s[18:19], -v[90:91]
	v_fma_f64 v[42:43], v[42:43], s[18:19], -v[92:93]
	v_fma_f64 v[73:74], v[56:57], s[22:23], v[75:76]
	v_fma_f64 v[48:49], v[56:57], s[22:23], v[48:49]
	;; [unrolled: 1-line block ×4, first 2 shown]
	v_add_f64 v[77:78], v[54:55], v[66:67]
	v_add_f64 v[79:80], v[64:65], v[69:70]
	v_fma_f64 v[40:41], v[56:57], s[22:23], v[40:41]
	v_fma_f64 v[42:43], v[58:59], s[22:23], v[42:43]
	v_add_f64 v[60:61], v[60:61], v[66:67]
	v_add_f64 v[62:63], v[62:63], v[69:70]
	;; [unrolled: 1-line block ×4, first 2 shown]
	v_add_f64 v[52:53], v[77:78], -v[50:51]
	v_add_f64 v[54:55], v[48:49], v[79:80]
	v_add_f64 v[64:65], v[50:51], v[77:78]
	v_add_f64 v[66:67], v[79:80], -v[48:49]
	v_add_f64 v[56:57], v[42:43], v[60:61]
	v_add_f64 v[58:59], v[62:63], -v[40:41]
	v_add_f64 v[60:61], v[60:61], -v[42:43]
	v_add_f64 v[62:63], v[40:41], v[62:63]
	v_add_f64 v[48:49], v[75:76], v[86:87]
	v_add_f64 v[50:51], v[69:70], -v[73:74]
	v_add_f64 v[40:41], v[86:87], -v[75:76]
	v_add_f64 v[42:43], v[73:74], v[69:70]
	s_and_saveexec_b64 s[8:9], s[2:3]
	s_cbranch_execz .LBB0_11
; %bb.10:
	ds_write_b128 v82, v[44:47]
	ds_write_b128 v82, v[48:51] offset:864
	ds_write_b128 v82, v[56:59] offset:1728
	;; [unrolled: 1-line block ×6, first 2 shown]
.LBB0_11:
	s_or_b64 exec, exec, s[8:9]
	s_waitcnt lgkmcnt(0)
	s_barrier
	s_and_saveexec_b64 s[8:9], s[0:1]
	s_cbranch_execz .LBB0_13
; %bb.12:
	v_add_co_u32_e32 v88, vcc, s14, v82
	v_mov_b32_e32 v69, s15
	v_addc_co_u32_e32 v89, vcc, 0, v69, vcc
	v_add_co_u32_e32 v86, vcc, 0x17a0, v88
	v_addc_co_u32_e32 v87, vcc, 0, v89, vcc
	v_add_co_u32_e32 v73, vcc, 0x1000, v88
	v_addc_co_u32_e32 v74, vcc, 0, v89, vcc
	global_load_dwordx4 v[73:76], v[73:74], off offset:1952
	ds_read_b128 v[69:72], v82
	s_movk_i32 s10, 0x2000
	s_waitcnt vmcnt(0) lgkmcnt(0)
	v_mul_f64 v[77:78], v[71:72], v[75:76]
	v_fma_f64 v[77:78], v[69:70], v[73:74], -v[77:78]
	v_mul_f64 v[69:70], v[69:70], v[75:76]
	v_fma_f64 v[79:80], v[71:72], v[73:74], v[69:70]
	global_load_dwordx4 v[73:76], v[86:87], off offset:1008
	ds_read_b128 v[69:72], v82 offset:1008
	ds_write_b128 v82, v[77:80]
	s_waitcnt vmcnt(0) lgkmcnt(1)
	v_mul_f64 v[77:78], v[71:72], v[75:76]
	v_fma_f64 v[77:78], v[69:70], v[73:74], -v[77:78]
	v_mul_f64 v[69:70], v[69:70], v[75:76]
	v_fma_f64 v[79:80], v[71:72], v[73:74], v[69:70]
	global_load_dwordx4 v[73:76], v[86:87], off offset:2016
	ds_read_b128 v[69:72], v82 offset:2016
	ds_write_b128 v82, v[77:80] offset:1008
	s_waitcnt vmcnt(0) lgkmcnt(1)
	v_mul_f64 v[77:78], v[71:72], v[75:76]
	v_fma_f64 v[77:78], v[69:70], v[73:74], -v[77:78]
	v_mul_f64 v[69:70], v[69:70], v[75:76]
	v_fma_f64 v[79:80], v[71:72], v[73:74], v[69:70]
	global_load_dwordx4 v[73:76], v[86:87], off offset:3024
	ds_read_b128 v[69:72], v82 offset:3024
	ds_write_b128 v82, v[77:80] offset:2016
	;; [unrolled: 8-line block ×3, first 2 shown]
	s_waitcnt vmcnt(0) lgkmcnt(1)
	v_mul_f64 v[77:78], v[71:72], v[75:76]
	v_fma_f64 v[77:78], v[69:70], v[73:74], -v[77:78]
	v_mul_f64 v[69:70], v[69:70], v[75:76]
	v_fma_f64 v[79:80], v[71:72], v[73:74], v[69:70]
	v_add_co_u32_e32 v73, vcc, s10, v88
	v_addc_co_u32_e32 v74, vcc, 0, v89, vcc
	global_load_dwordx4 v[73:76], v[73:74], off offset:2896
	ds_read_b128 v[69:72], v82 offset:5040
	ds_write_b128 v82, v[77:80] offset:4032
	s_waitcnt vmcnt(0) lgkmcnt(1)
	v_mul_f64 v[77:78], v[71:72], v[75:76]
	v_fma_f64 v[77:78], v[69:70], v[73:74], -v[77:78]
	v_mul_f64 v[69:70], v[69:70], v[75:76]
	v_fma_f64 v[79:80], v[71:72], v[73:74], v[69:70]
	ds_write_b128 v82, v[77:80] offset:5040
.LBB0_13:
	s_or_b64 exec, exec, s[8:9]
	s_waitcnt lgkmcnt(0)
	s_barrier
	s_and_saveexec_b64 s[8:9], s[0:1]
	s_cbranch_execz .LBB0_15
; %bb.14:
	ds_read_b128 v[44:47], v82
	ds_read_b128 v[48:51], v82 offset:1008
	ds_read_b128 v[56:59], v82 offset:2016
	;; [unrolled: 1-line block ×5, first 2 shown]
.LBB0_15:
	s_or_b64 exec, exec, s[8:9]
	s_waitcnt lgkmcnt(1)
	v_add_f64 v[69:70], v[56:57], v[64:65]
	s_waitcnt lgkmcnt(0)
	v_add_f64 v[75:76], v[54:55], v[62:63]
	v_add_f64 v[71:72], v[44:45], v[56:57]
	v_add_f64 v[73:74], v[58:59], -v[66:67]
	v_add_f64 v[77:78], v[52:53], v[60:61]
	v_add_f64 v[86:87], v[52:53], -v[60:61]
	s_mov_b32 s8, 0xe8584caa
	s_mov_b32 s9, 0xbfebb67a
	v_fma_f64 v[44:45], v[69:70], -0.5, v[44:45]
	v_fma_f64 v[75:76], v[75:76], -0.5, v[50:51]
	s_mov_b32 s11, 0x3febb67a
	s_mov_b32 s10, s8
	v_add_f64 v[79:80], v[46:47], v[58:59]
	v_add_f64 v[88:89], v[58:59], v[66:67]
	;; [unrolled: 1-line block ×3, first 2 shown]
	v_fma_f64 v[77:78], v[77:78], -0.5, v[48:49]
	v_fma_f64 v[69:70], v[73:74], s[8:9], v[44:45]
	v_add_f64 v[90:91], v[54:55], -v[62:63]
	v_fma_f64 v[71:72], v[73:74], s[10:11], v[44:45]
	v_fma_f64 v[44:45], v[86:87], s[10:11], v[75:76]
	;; [unrolled: 1-line block ×3, first 2 shown]
	v_add_f64 v[66:67], v[79:80], v[66:67]
	v_fma_f64 v[46:47], v[88:89], -0.5, v[46:47]
	v_add_f64 v[56:57], v[56:57], -v[64:65]
	v_add_f64 v[48:49], v[48:49], v[52:53]
	v_fma_f64 v[52:53], v[90:91], s[8:9], v[77:78]
	v_fma_f64 v[79:80], v[90:91], s[10:11], v[77:78]
	v_mul_f64 v[64:65], v[44:45], s[8:9]
	v_mul_f64 v[77:78], v[73:74], s[8:9]
	v_add_f64 v[50:51], v[50:51], v[54:55]
	v_mul_f64 v[44:45], v[44:45], 0.5
	v_mul_f64 v[54:55], v[73:74], -0.5
	v_fma_f64 v[73:74], v[56:57], s[10:11], v[46:47]
	v_fma_f64 v[75:76], v[56:57], s[8:9], v[46:47]
	v_add_f64 v[56:57], v[48:49], v[60:61]
	v_fma_f64 v[60:61], v[52:53], 0.5, v[64:65]
	v_fma_f64 v[64:65], v[79:80], -0.5, v[77:78]
	v_add_f64 v[62:63], v[50:51], v[62:63]
	v_fma_f64 v[77:78], v[52:53], s[10:11], v[44:45]
	v_fma_f64 v[79:80], v[79:80], s[10:11], v[54:55]
	s_barrier
	v_add_f64 v[44:45], v[58:59], -v[56:57]
	v_add_f64 v[48:49], v[69:70], -v[60:61]
	;; [unrolled: 1-line block ×6, first 2 shown]
	s_and_saveexec_b64 s[16:17], s[0:1]
	s_cbranch_execz .LBB0_17
; %bb.16:
	v_add_f64 v[88:89], v[66:67], v[62:63]
	v_add_f64 v[86:87], v[58:59], v[56:57]
	;; [unrolled: 1-line block ×6, first 2 shown]
	v_lshlrev_b32_e32 v56, 4, v83
	ds_write_b128 v56, v[86:89]
	ds_write_b128 v56, v[77:80] offset:16
	ds_write_b128 v56, v[73:76] offset:32
	;; [unrolled: 1-line block ×5, first 2 shown]
.LBB0_17:
	s_or_b64 exec, exec, s[16:17]
	s_waitcnt lgkmcnt(0)
	s_barrier
	ds_read_b128 v[56:59], v82 offset:2016
	ds_read_b128 v[60:63], v82 offset:4032
	s_waitcnt lgkmcnt(1)
	v_mul_f64 v[64:65], v[6:7], v[58:59]
	s_waitcnt lgkmcnt(0)
	v_mul_f64 v[66:67], v[2:3], v[62:63]
	v_mul_f64 v[6:7], v[6:7], v[56:57]
	;; [unrolled: 1-line block ×3, first 2 shown]
	v_fma_f64 v[56:57], v[4:5], v[56:57], v[64:65]
	v_fma_f64 v[60:61], v[0:1], v[60:61], v[66:67]
	v_fma_f64 v[4:5], v[4:5], v[58:59], -v[6:7]
	v_fma_f64 v[6:7], v[0:1], v[62:63], -v[2:3]
	ds_read_b128 v[0:3], v82
	s_waitcnt lgkmcnt(0)
	s_barrier
	v_add_f64 v[58:59], v[56:57], v[60:61]
	v_add_f64 v[64:65], v[0:1], v[56:57]
	;; [unrolled: 1-line block ×3, first 2 shown]
	v_add_f64 v[66:67], v[4:5], -v[6:7]
	v_add_f64 v[4:5], v[2:3], v[4:5]
	v_add_f64 v[69:70], v[56:57], -v[60:61]
	v_fma_f64 v[58:59], v[58:59], -0.5, v[0:1]
	v_add_f64 v[0:1], v[64:65], v[60:61]
	v_fma_f64 v[62:63], v[62:63], -0.5, v[2:3]
	v_add_f64 v[2:3], v[4:5], v[6:7]
	v_fma_f64 v[4:5], v[66:67], s[8:9], v[58:59]
	v_fma_f64 v[56:57], v[66:67], s[10:11], v[58:59]
	;; [unrolled: 1-line block ×4, first 2 shown]
	ds_write_b128 v85, v[0:3]
	ds_write_b128 v85, v[4:7] offset:96
	ds_write_b128 v85, v[56:59] offset:192
	s_waitcnt lgkmcnt(0)
	s_barrier
	ds_read_b128 v[0:3], v82 offset:2016
	ds_read_b128 v[4:7], v82 offset:4032
	s_waitcnt lgkmcnt(1)
	v_mul_f64 v[56:57], v[26:27], v[2:3]
	s_waitcnt lgkmcnt(0)
	v_mul_f64 v[58:59], v[22:23], v[6:7]
	v_mul_f64 v[26:27], v[26:27], v[0:1]
	;; [unrolled: 1-line block ×3, first 2 shown]
	v_fma_f64 v[56:57], v[24:25], v[0:1], v[56:57]
	v_fma_f64 v[4:5], v[20:21], v[4:5], v[58:59]
	v_fma_f64 v[24:25], v[24:25], v[2:3], -v[26:27]
	v_fma_f64 v[6:7], v[20:21], v[6:7], -v[22:23]
	ds_read_b128 v[0:3], v82
	s_waitcnt lgkmcnt(0)
	s_barrier
	v_add_f64 v[20:21], v[56:57], v[4:5]
	v_add_f64 v[26:27], v[0:1], v[56:57]
	;; [unrolled: 1-line block ×3, first 2 shown]
	v_add_f64 v[58:59], v[24:25], -v[6:7]
	v_add_f64 v[24:25], v[2:3], v[24:25]
	v_add_f64 v[56:57], v[56:57], -v[4:5]
	v_fma_f64 v[20:21], v[20:21], -0.5, v[0:1]
	v_add_f64 v[0:1], v[26:27], v[4:5]
	v_fma_f64 v[22:23], v[22:23], -0.5, v[2:3]
	v_add_f64 v[2:3], v[24:25], v[6:7]
	v_fma_f64 v[4:5], v[58:59], s[8:9], v[20:21]
	v_fma_f64 v[20:21], v[58:59], s[10:11], v[20:21]
	;; [unrolled: 1-line block ×4, first 2 shown]
	ds_write_b128 v84, v[0:3]
	ds_write_b128 v84, v[4:7] offset:288
	ds_write_b128 v84, v[20:23] offset:576
	s_waitcnt lgkmcnt(0)
	s_barrier
	s_and_saveexec_b64 s[8:9], s[2:3]
	s_cbranch_execz .LBB0_19
; %bb.18:
	ds_read_b128 v[0:3], v82
	ds_read_b128 v[4:7], v82 offset:864
	ds_read_b128 v[20:23], v82 offset:1728
	;; [unrolled: 1-line block ×6, first 2 shown]
.LBB0_19:
	s_or_b64 exec, exec, s[8:9]
	s_and_saveexec_b64 s[8:9], s[2:3]
	s_cbranch_execz .LBB0_21
; %bb.20:
	s_waitcnt lgkmcnt(5)
	v_mul_f64 v[24:25], v[18:19], v[6:7]
	s_waitcnt lgkmcnt(0)
	v_mul_f64 v[26:27], v[34:35], v[42:43]
	v_mul_f64 v[60:61], v[30:31], v[22:23]
	;; [unrolled: 1-line block ×11, first 2 shown]
	v_fma_f64 v[34:35], v[32:33], v[42:43], -v[34:35]
	v_fma_f64 v[6:7], v[16:17], v[6:7], -v[18:19]
	;; [unrolled: 1-line block ×4, first 2 shown]
	v_fma_f64 v[56:57], v[8:9], v[48:49], v[56:57]
	v_fma_f64 v[58:59], v[12:13], v[44:45], v[58:59]
	v_fma_f64 v[20:21], v[28:29], v[20:21], v[60:61]
	v_fma_f64 v[12:13], v[12:13], v[46:47], -v[14:15]
	v_fma_f64 v[8:9], v[8:9], v[50:51], -v[10:11]
	v_add_f64 v[28:29], v[6:7], v[34:35]
	v_fma_f64 v[52:53], v[36:37], v[52:53], v[62:63]
	v_add_f64 v[30:31], v[22:23], v[18:19]
	v_fma_f64 v[4:5], v[16:17], v[4:5], v[24:25]
	v_fma_f64 v[16:17], v[32:33], v[40:41], v[26:27]
	v_add_f64 v[24:25], v[56:57], -v[58:59]
	s_mov_b32 s16, 0x37e14327
	v_add_f64 v[36:37], v[12:13], v[8:9]
	s_mov_b32 s17, 0x3fe948f6
	v_add_f64 v[26:27], v[20:21], -v[52:53]
	v_add_f64 v[32:33], v[30:31], v[28:29]
	v_add_f64 v[8:9], v[8:9], -v[12:13]
	v_add_f64 v[10:11], v[4:5], -v[16:17]
	v_add_f64 v[4:5], v[4:5], v[16:17]
	v_add_f64 v[16:17], v[20:21], v[52:53]
	v_add_f64 v[40:41], v[28:29], -v[36:37]
	v_add_f64 v[12:13], v[22:23], -v[18:19]
	;; [unrolled: 1-line block ×3, first 2 shown]
	v_add_f64 v[32:33], v[36:37], v[32:33]
	v_add_f64 v[36:37], v[36:37], -v[30:31]
	v_add_f64 v[38:39], v[10:11], -v[24:25]
	v_add_f64 v[24:25], v[24:25], v[26:27]
	s_mov_b32 s18, 0xaaaaaaaa
	v_mul_f64 v[40:41], v[40:41], s[16:17]
	s_mov_b32 s20, 0x36b3c0b5
	s_mov_b32 s19, 0xbff2aaaa
	v_add_f64 v[2:3], v[2:3], v[32:33]
	s_mov_b32 s21, 0x3fac98ee
	v_add_f64 v[42:43], v[16:17], v[4:5]
	v_add_f64 v[44:45], v[58:59], v[56:57]
	v_add_f64 v[34:35], v[6:7], -v[34:35]
	v_fma_f64 v[18:19], v[36:37], s[20:21], v[40:41]
	v_add_f64 v[6:7], v[8:9], -v[12:13]
	v_add_f64 v[24:25], v[24:25], v[10:11]
	v_fma_f64 v[32:33], v[32:33], s[18:19], v[2:3]
	v_add_f64 v[10:11], v[26:27], -v[10:11]
	s_mov_b32 s10, 0xe976ee23
	s_mov_b32 s11, 0x3fe11646
	v_mul_f64 v[14:15], v[14:15], s[10:11]
	v_add_f64 v[22:23], v[44:45], v[42:43]
	v_add_f64 v[42:43], v[4:5], -v[44:45]
	v_add_f64 v[26:27], v[34:35], -v[8:9]
	v_add_f64 v[46:47], v[18:19], v[32:33]
	v_add_f64 v[18:19], v[44:45], -v[16:17]
	v_mul_f64 v[44:45], v[6:7], s[10:11]
	s_mov_b32 s10, 0x429ad128
	s_mov_b32 s11, 0xbfebfeb5
	v_mul_f64 v[50:51], v[10:11], s[10:11]
	v_add_f64 v[28:29], v[30:31], -v[28:29]
	v_add_f64 v[30:31], v[12:13], -v[34:35]
	s_mov_b32 s3, 0xbfd5d0dc
	s_mov_b32 s2, 0xb247c609
	v_mul_f64 v[42:43], v[42:43], s[16:17]
	v_add_f64 v[4:5], v[16:17], -v[4:5]
	v_fma_f64 v[20:21], v[38:39], s[2:3], v[14:15]
	v_add_f64 v[0:1], v[0:1], v[22:23]
	v_mul_f64 v[36:37], v[36:37], s[20:21]
	v_fma_f64 v[52:53], v[26:27], s[2:3], v[44:45]
	v_add_f64 v[8:9], v[8:9], v[12:13]
	s_mov_b32 s3, 0x3fd5d0dc
	v_fma_f64 v[12:13], v[38:39], s[2:3], -v[50:51]
	v_mul_f64 v[38:39], v[30:31], s[10:11]
	v_mul_f64 v[48:49], v[18:19], s[20:21]
	s_mov_b32 s17, 0xbfe77f67
	s_mov_b32 s16, 0x5476071b
	v_fma_f64 v[16:17], v[28:29], s[16:17], -v[40:41]
	v_fma_f64 v[40:41], v[4:5], s[16:17], -v[42:43]
	s_mov_b32 s17, 0x3fe77f67
	v_fma_f64 v[22:23], v[22:23], s[18:19], v[0:1]
	v_fma_f64 v[18:19], v[18:19], s[20:21], v[42:43]
	v_fma_f64 v[28:29], v[28:29], s[16:17], -v[36:37]
	v_fma_f64 v[10:11], v[10:11], s[10:11], -v[14:15]
	v_add_f64 v[8:9], v[8:9], v[34:35]
	v_fma_f64 v[14:15], v[26:27], s[2:3], -v[38:39]
	v_fma_f64 v[4:5], v[4:5], s[16:17], -v[48:49]
	;; [unrolled: 1-line block ×3, first 2 shown]
	s_mov_b32 s22, 0x37c3f68c
	s_mov_b32 s23, 0xbfdc38aa
	v_fma_f64 v[20:21], v[24:25], s[22:23], v[20:21]
	v_fma_f64 v[12:13], v[24:25], s[22:23], v[12:13]
	v_add_f64 v[16:17], v[16:17], v[32:33]
	v_add_f64 v[28:29], v[28:29], v[32:33]
	v_fma_f64 v[24:25], v[24:25], s[22:23], v[10:11]
	v_add_f64 v[30:31], v[18:19], v[22:23]
	v_fma_f64 v[32:33], v[8:9], s[22:23], v[52:53]
	;; [unrolled: 2-line block ×4, first 2 shown]
	v_add_f64 v[26:27], v[46:47], -v[20:21]
	v_add_f64 v[14:15], v[28:29], -v[24:25]
	v_add_f64 v[18:19], v[24:25], v[28:29]
	v_add_f64 v[24:25], v[32:33], v[30:31]
	;; [unrolled: 1-line block ×3, first 2 shown]
	v_add_f64 v[22:23], v[16:17], -v[12:13]
	v_add_f64 v[20:21], v[36:37], v[34:35]
	v_add_f64 v[10:11], v[12:13], v[16:17]
	v_add_f64 v[16:17], v[4:5], -v[8:9]
	v_add_f64 v[12:13], v[8:9], v[4:5]
	v_add_f64 v[8:9], v[34:35], -v[36:37]
	v_add_f64 v[4:5], v[30:31], -v[32:33]
	ds_write_b128 v82, v[0:3]
	ds_write_b128 v82, v[24:27] offset:864
	ds_write_b128 v82, v[20:23] offset:1728
	;; [unrolled: 1-line block ×6, first 2 shown]
.LBB0_21:
	s_or_b64 exec, exec, s[8:9]
	s_waitcnt lgkmcnt(0)
	s_barrier
	s_and_b64 exec, exec, s[0:1]
	s_cbranch_execz .LBB0_23
; %bb.22:
	v_mov_b32_e32 v0, s15
	v_add_co_u32_e32 v20, vcc, s14, v82
	v_addc_co_u32_e32 v21, vcc, 0, v0, vcc
	global_load_dwordx4 v[0:3], v82, s[14:15]
	global_load_dwordx4 v[4:7], v82, s[14:15] offset:1008
	global_load_dwordx4 v[8:11], v82, s[14:15] offset:2016
	;; [unrolled: 1-line block ×4, first 2 shown]
	s_movk_i32 s0, 0x1000
	v_add_co_u32_e32 v20, vcc, s0, v20
	v_addc_co_u32_e32 v21, vcc, 0, v21, vcc
	global_load_dwordx4 v[20:23], v[20:21], off offset:944
	v_mad_u64_u32 v[48:49], s[0:1], s6, v68, 0
	v_mad_u64_u32 v[50:51], s[2:3], s4, v81, 0
	s_mul_i32 s2, s5, 0x3f0
	s_mul_hi_u32 s3, s4, 0x3f0
	s_add_i32 s6, s3, s2
	v_mad_u64_u32 v[52:53], s[2:3], s7, v68, v[49:50]
	v_mov_b32_e32 v55, s13
	s_mulk_i32 s4, 0x3f0
	v_mad_u64_u32 v[53:54], s[2:3], s5, v81, v[51:52]
	v_mov_b32_e32 v49, v52
	v_lshlrev_b64 v[48:49], 4, v[48:49]
	v_mov_b32_e32 v51, v53
	v_lshlrev_b64 v[50:51], 4, v[50:51]
	v_add_co_u32_e32 v48, vcc, s12, v48
	v_addc_co_u32_e32 v49, vcc, v55, v49, vcc
	v_add_co_u32_e32 v48, vcc, v48, v50
	v_addc_co_u32_e32 v49, vcc, v49, v51, vcc
	ds_read_b128 v[24:27], v82
	ds_read_b128 v[28:31], v82 offset:1008
	v_mov_b32_e32 v56, s6
	v_add_co_u32_e32 v50, vcc, s4, v48
	v_addc_co_u32_e32 v51, vcc, v49, v56, vcc
	v_mov_b32_e32 v57, s6
	v_add_co_u32_e32 v52, vcc, s4, v50
	v_addc_co_u32_e32 v53, vcc, v51, v57, vcc
	ds_read_b128 v[32:35], v82 offset:2016
	ds_read_b128 v[36:39], v82 offset:3024
	;; [unrolled: 1-line block ×4, first 2 shown]
	v_mov_b32_e32 v58, s6
	v_add_co_u32_e32 v54, vcc, s4, v52
	v_addc_co_u32_e32 v55, vcc, v53, v58, vcc
	s_mov_b32 s0, 0x6b015ac0
	s_mov_b32 s1, 0x3f65ac05
	v_mov_b32_e32 v68, s6
	s_waitcnt vmcnt(5) lgkmcnt(5)
	v_mul_f64 v[56:57], v[26:27], v[2:3]
	v_mul_f64 v[2:3], v[24:25], v[2:3]
	s_waitcnt vmcnt(4) lgkmcnt(4)
	v_mul_f64 v[58:59], v[30:31], v[6:7]
	v_mul_f64 v[6:7], v[28:29], v[6:7]
	;; [unrolled: 3-line block ×6, first 2 shown]
	v_fma_f64 v[24:25], v[24:25], v[0:1], v[56:57]
	v_fma_f64 v[2:3], v[0:1], v[26:27], -v[2:3]
	v_fma_f64 v[26:27], v[28:29], v[4:5], v[58:59]
	v_fma_f64 v[6:7], v[4:5], v[30:31], -v[6:7]
	;; [unrolled: 2-line block ×5, first 2 shown]
	v_mul_f64 v[0:1], v[24:25], s[0:1]
	v_mul_f64 v[2:3], v[2:3], s[0:1]
	v_fma_f64 v[24:25], v[44:45], v[20:21], v[66:67]
	v_fma_f64 v[20:21], v[20:21], v[46:47], -v[22:23]
	v_mul_f64 v[4:5], v[26:27], s[0:1]
	v_mul_f64 v[6:7], v[6:7], s[0:1]
	;; [unrolled: 1-line block ×8, first 2 shown]
	global_store_dwordx4 v[48:49], v[0:3], off
	global_store_dwordx4 v[50:51], v[4:7], off
	;; [unrolled: 1-line block ×4, first 2 shown]
	v_mul_f64 v[0:1], v[24:25], s[0:1]
	v_mul_f64 v[2:3], v[20:21], s[0:1]
	v_add_co_u32_e32 v4, vcc, s4, v54
	v_addc_co_u32_e32 v5, vcc, v55, v68, vcc
	global_store_dwordx4 v[4:5], v[16:19], off
	v_mov_b32_e32 v6, s6
	v_add_co_u32_e32 v4, vcc, s4, v4
	v_addc_co_u32_e32 v5, vcc, v5, v6, vcc
	global_store_dwordx4 v[4:5], v[0:3], off
.LBB0_23:
	s_endpgm
	.section	.rodata,"a",@progbits
	.p2align	6, 0x0
	.amdhsa_kernel bluestein_single_back_len378_dim1_dp_op_CI_CI
		.amdhsa_group_segment_fixed_size 6048
		.amdhsa_private_segment_fixed_size 0
		.amdhsa_kernarg_size 104
		.amdhsa_user_sgpr_count 6
		.amdhsa_user_sgpr_private_segment_buffer 1
		.amdhsa_user_sgpr_dispatch_ptr 0
		.amdhsa_user_sgpr_queue_ptr 0
		.amdhsa_user_sgpr_kernarg_segment_ptr 1
		.amdhsa_user_sgpr_dispatch_id 0
		.amdhsa_user_sgpr_flat_scratch_init 0
		.amdhsa_user_sgpr_private_segment_size 0
		.amdhsa_uses_dynamic_stack 0
		.amdhsa_system_sgpr_private_segment_wavefront_offset 0
		.amdhsa_system_sgpr_workgroup_id_x 1
		.amdhsa_system_sgpr_workgroup_id_y 0
		.amdhsa_system_sgpr_workgroup_id_z 0
		.amdhsa_system_sgpr_workgroup_info 0
		.amdhsa_system_vgpr_workitem_id 0
		.amdhsa_next_free_vgpr 98
		.amdhsa_next_free_sgpr 28
		.amdhsa_reserve_vcc 1
		.amdhsa_reserve_flat_scratch 0
		.amdhsa_float_round_mode_32 0
		.amdhsa_float_round_mode_16_64 0
		.amdhsa_float_denorm_mode_32 3
		.amdhsa_float_denorm_mode_16_64 3
		.amdhsa_dx10_clamp 1
		.amdhsa_ieee_mode 1
		.amdhsa_fp16_overflow 0
		.amdhsa_exception_fp_ieee_invalid_op 0
		.amdhsa_exception_fp_denorm_src 0
		.amdhsa_exception_fp_ieee_div_zero 0
		.amdhsa_exception_fp_ieee_overflow 0
		.amdhsa_exception_fp_ieee_underflow 0
		.amdhsa_exception_fp_ieee_inexact 0
		.amdhsa_exception_int_div_zero 0
	.end_amdhsa_kernel
	.text
.Lfunc_end0:
	.size	bluestein_single_back_len378_dim1_dp_op_CI_CI, .Lfunc_end0-bluestein_single_back_len378_dim1_dp_op_CI_CI
                                        ; -- End function
	.section	.AMDGPU.csdata,"",@progbits
; Kernel info:
; codeLenInByte = 6408
; NumSgprs: 32
; NumVgprs: 98
; ScratchSize: 0
; MemoryBound: 0
; FloatMode: 240
; IeeeMode: 1
; LDSByteSize: 6048 bytes/workgroup (compile time only)
; SGPRBlocks: 3
; VGPRBlocks: 24
; NumSGPRsForWavesPerEU: 32
; NumVGPRsForWavesPerEU: 98
; Occupancy: 2
; WaveLimiterHint : 1
; COMPUTE_PGM_RSRC2:SCRATCH_EN: 0
; COMPUTE_PGM_RSRC2:USER_SGPR: 6
; COMPUTE_PGM_RSRC2:TRAP_HANDLER: 0
; COMPUTE_PGM_RSRC2:TGID_X_EN: 1
; COMPUTE_PGM_RSRC2:TGID_Y_EN: 0
; COMPUTE_PGM_RSRC2:TGID_Z_EN: 0
; COMPUTE_PGM_RSRC2:TIDIG_COMP_CNT: 0
	.type	__hip_cuid_fcd5f5d512a9b74a,@object ; @__hip_cuid_fcd5f5d512a9b74a
	.section	.bss,"aw",@nobits
	.globl	__hip_cuid_fcd5f5d512a9b74a
__hip_cuid_fcd5f5d512a9b74a:
	.byte	0                               ; 0x0
	.size	__hip_cuid_fcd5f5d512a9b74a, 1

	.ident	"AMD clang version 19.0.0git (https://github.com/RadeonOpenCompute/llvm-project roc-6.4.0 25133 c7fe45cf4b819c5991fe208aaa96edf142730f1d)"
	.section	".note.GNU-stack","",@progbits
	.addrsig
	.addrsig_sym __hip_cuid_fcd5f5d512a9b74a
	.amdgpu_metadata
---
amdhsa.kernels:
  - .args:
      - .actual_access:  read_only
        .address_space:  global
        .offset:         0
        .size:           8
        .value_kind:     global_buffer
      - .actual_access:  read_only
        .address_space:  global
        .offset:         8
        .size:           8
        .value_kind:     global_buffer
      - .actual_access:  read_only
        .address_space:  global
        .offset:         16
        .size:           8
        .value_kind:     global_buffer
      - .actual_access:  read_only
        .address_space:  global
        .offset:         24
        .size:           8
        .value_kind:     global_buffer
      - .actual_access:  read_only
        .address_space:  global
        .offset:         32
        .size:           8
        .value_kind:     global_buffer
      - .offset:         40
        .size:           8
        .value_kind:     by_value
      - .address_space:  global
        .offset:         48
        .size:           8
        .value_kind:     global_buffer
      - .address_space:  global
        .offset:         56
        .size:           8
        .value_kind:     global_buffer
      - .address_space:  global
        .offset:         64
        .size:           8
        .value_kind:     global_buffer
      - .address_space:  global
        .offset:         72
        .size:           8
        .value_kind:     global_buffer
      - .offset:         80
        .size:           4
        .value_kind:     by_value
      - .address_space:  global
        .offset:         88
        .size:           8
        .value_kind:     global_buffer
      - .address_space:  global
        .offset:         96
        .size:           8
        .value_kind:     global_buffer
    .group_segment_fixed_size: 6048
    .kernarg_segment_align: 8
    .kernarg_segment_size: 104
    .language:       OpenCL C
    .language_version:
      - 2
      - 0
    .max_flat_workgroup_size: 126
    .name:           bluestein_single_back_len378_dim1_dp_op_CI_CI
    .private_segment_fixed_size: 0
    .sgpr_count:     32
    .sgpr_spill_count: 0
    .symbol:         bluestein_single_back_len378_dim1_dp_op_CI_CI.kd
    .uniform_work_group_size: 1
    .uses_dynamic_stack: false
    .vgpr_count:     98
    .vgpr_spill_count: 0
    .wavefront_size: 64
amdhsa.target:   amdgcn-amd-amdhsa--gfx906
amdhsa.version:
  - 1
  - 2
...

	.end_amdgpu_metadata
